;; amdgpu-corpus repo=zjin-lcf/HeCBench kind=compiled arch=gfx1030 opt=O3
	.amdgcn_target "amdgcn-amd-amdhsa--gfx1030"
	.amdhsa_code_object_version 6
	.text
	.protected	_Z15nbnxmKernelTestPK15HIP_vector_typeIfLj4EEPN3gmx11BasicVectorIfEES6_S6_P11nbnxn_cj4_tPK9nbnxn_sciPK12nbnxn_excl_tPKiPKS_IfLj2EEifffb ; -- Begin function _Z15nbnxmKernelTestPK15HIP_vector_typeIfLj4EEPN3gmx11BasicVectorIfEES6_S6_P11nbnxn_cj4_tPK9nbnxn_sciPK12nbnxn_excl_tPKiPKS_IfLj2EEifffb
	.globl	_Z15nbnxmKernelTestPK15HIP_vector_typeIfLj4EEPN3gmx11BasicVectorIfEES6_S6_P11nbnxn_cj4_tPK9nbnxn_sciPK12nbnxn_excl_tPKiPKS_IfLj2EEifffb
	.p2align	8
	.type	_Z15nbnxmKernelTestPK15HIP_vector_typeIfLj4EEPN3gmx11BasicVectorIfEES6_S6_P11nbnxn_cj4_tPK9nbnxn_sciPK12nbnxn_excl_tPKiPKS_IfLj2EEifffb,@function
_Z15nbnxmKernelTestPK15HIP_vector_typeIfLj4EEPN3gmx11BasicVectorIfEES6_S6_P11nbnxn_cj4_tPK9nbnxn_sciPK12nbnxn_excl_tPKiPKS_IfLj2EEifffb: ; @_Z15nbnxmKernelTestPK15HIP_vector_typeIfLj4EEPN3gmx11BasicVectorIfEES6_S6_P11nbnxn_cj4_tPK9nbnxn_sciPK12nbnxn_excl_tPKiPKS_IfLj2EEifffb
; %bb.0:
	s_clause 0x1
	s_load_dwordx2 s[0:1], s[4:5], 0x28
	s_load_dwordx2 s[24:25], s[4:5], 0x38
	s_mov_b32 s6, s7
	s_mov_b32 s7, 0
	v_lshl_add_u32 v34, v1, 3, v0
	s_lshl_b64 s[2:3], s[6:7], 4
	s_load_dwordx8 s[8:15], s[4:5], 0x0
	s_waitcnt lgkmcnt(0)
	s_add_u32 s0, s0, s2
	s_addc_u32 s1, s1, s3
	s_load_dwordx4 s[16:19], s[0:1], 0x0
	s_waitcnt lgkmcnt(0)
	s_lshl_b32 s30, s16, 6
	s_mul_i32 s29, s17, 12
	v_add_nc_u32_e32 v2, s30, v34
	s_mul_hi_i32 s28, s17, 12
	s_add_u32 s0, s12, s29
	s_addc_u32 s1, s13, s28
	s_cmp_lg_u32 s17, 22
	v_ashrrev_i32_e32 v3, 31, v2
	v_lshlrev_b64 v[4:5], 4, v[2:3]
	v_lshlrev_b64 v[6:7], 2, v[2:3]
	v_add_co_u32 v4, vcc_lo, s8, v4
	v_add_co_ci_u32_e64 v5, null, s9, v5, vcc_lo
	v_add_co_u32 v6, vcc_lo, s24, v6
	v_add_co_ci_u32_e64 v7, null, s25, v7, vcc_lo
	global_load_dwordx4 v[2:5], v[4:5], off
	global_load_dword v6, v[6:7], off
	s_clause 0x1
	s_load_dwordx2 s[2:3], s[0:1], 0x0
	s_load_dword s0, s[0:1], 0x8
	s_clause 0x1
	s_load_dwordx4 s[20:23], s[4:5], 0x48
	s_load_dword s31, s[4:5], 0x58
	v_lshlrev_b32_e32 v7, 4, v34
	v_mad_i32_i24 v8, v34, -12, v7
	s_waitcnt vmcnt(1)
	v_add_f32_e32 v5, 0, v5
	s_waitcnt lgkmcnt(0)
	v_add_f32_e32 v2, s2, v2
	v_add_f32_e32 v3, s3, v3
	;; [unrolled: 1-line block ×3, first 2 shown]
	v_mul_f32_e32 v5, s23, v5
	s_cselect_b32 s23, -1, 0
	s_cmp_ge_i32 s18, s19
	ds_write_b128 v7, v[2:5]
	s_waitcnt vmcnt(0)
	ds_write_b32 v8, v6 offset:1792
	s_waitcnt lgkmcnt(0)
	s_barrier
	buffer_gl0_inv
	s_cbranch_scc1 .LBB0_44
; %bb.1:
	v_lshlrev_b32_e32 v35, 4, v0
	s_clause 0x2
	s_load_dwordx2 s[12:13], s[4:5], 0x40
	s_load_dwordx2 s[26:27], s[4:5], 0x20
	;; [unrolled: 1-line block ×3, first 2 shown]
	v_and_b32_e32 v3, 31, v34
	v_mov_b32_e32 v2, 0
	v_and_b32_e32 v4, 1, v0
	v_mad_i32_i24 v36, v0, -12, v35
	v_and_b32_e32 v5, 2, v0
	v_lshlrev_b32_e32 v11, 2, v0
	v_lshlrev_b32_e32 v19, 2, v3
	v_lshrrev_b32_e32 v10, 5, v34
	v_mad_u32_u24 v37, v0, 12, v36
	v_mul_i32_i24_e32 v18, -12, v0
	v_mov_b32_e32 v9, v2
	v_mul_f32_e64 v40, s22, s22
	v_cmp_eq_u32_e64 s1, 0, v4
	v_mad_i32_i24 v38, v0, -12, v37
	v_cmp_eq_u32_e64 s2, 0, v5
	v_mov_b32_e32 v3, v2
	v_mov_b32_e32 v4, v2
	;; [unrolled: 1-line block ×3, first 2 shown]
	v_mad_u32_u24 v39, v0, 12, v38
	v_mov_b32_e32 v6, v2
	v_mov_b32_e32 v7, v2
	;; [unrolled: 1-line block ×3, first 2 shown]
	v_add_co_u32 v30, s3, s10, v11
	v_mad_i32_i24 v41, v0, -12, v39
	v_cmp_gt_u32_e32 vcc_lo, v1, v0
	v_add_co_ci_u32_e64 v31, null, s11, 0, s3
	s_waitcnt lgkmcnt(0)
	v_add_co_u32 v54, s3, s4, v19
	v_mad_u32_u24 v42, v0, 12, v41
	v_lshlrev_b32_e32 v52, 3, v10
	v_mov_b32_e32 v17, v9
	v_cmp_gt_u32_e64 s0, 3, v0
	v_mbcnt_lo_u32_b32 v45, -1, 0
	v_mad_i32_i24 v43, v0, -12, v42
	v_mul_f32_e32 v48, s22, v40
	v_mov_b32_e32 v16, v8
	v_mov_b32_e32 v15, v7
	;; [unrolled: 1-line block ×3, first 2 shown]
	v_mad_u32_u24 v44, v0, 12, v43
	v_mov_b32_e32 v13, v5
	v_mov_b32_e32 v12, v4
	v_mov_b32_e32 v11, v3
	v_mov_b32_e32 v10, v2
	v_mad_i32_i24 v46, v0, -12, v44
	v_add_co_ci_u32_e64 v55, null, s5, 0, s3
	s_lshl_b32 s33, s16, 3
	s_mov_b32 s34, 0x3a92b707
	v_mad_u32_u24 v47, v0, 12, v46
	s_mov_b32 s35, 0x3c739487
	s_or_b32 s36, s33, 1
	s_or_b32 s37, s33, 2
	;; [unrolled: 1-line block ×3, first 2 shown]
	v_mad_i32_i24 v49, v0, -12, v47
	s_or_b32 s39, s33, 4
	s_or_b32 s40, s33, 5
	s_or_b32 s41, s33, 6
	s_or_b32 s42, s33, 7
	v_mad_u32_u24 v50, v0, 12, v49
	s_or_b32 s22, vcc_lo, s23
	s_mov_b32 s43, 0xb2951928
	s_mov_b32 s44, 0x35c55945
	s_mov_b32 s4, s18
	v_mad_i32_i24 v51, v0, -12, v50
	v_mad_u32_u24 v53, v0, 12, v51
	v_add_nc_u32_e32 v56, v53, v18
	v_mov_b32_e32 v25, v9
	v_mov_b32_e32 v24, v8
	;; [unrolled: 1-line block ×8, first 2 shown]
	s_branch .LBB0_3
.LBB0_2:                                ;   in Loop: Header=BB0_3 Depth=1
	s_or_b32 exec_lo, exec_lo, s5
	s_add_i32 s4, s4, 1
	s_cmp_ge_i32 s4, s19
	s_cbranch_scc1 .LBB0_45
.LBB0_3:                                ; =>This Loop Header: Depth=1
                                        ;     Child Loop BB0_7 Depth 2
                                        ;       Child Loop BB0_42 Depth 3
	s_ashr_i32 s5, s4, 31
	s_lshl_b64 s[16:17], s[4:5], 5
	s_mov_b32 s5, exec_lo
	s_add_u32 s16, s26, s16
	s_addc_u32 s17, s27, s17
	global_load_dword v57, v52, s[16:17] offset:16
	s_waitcnt vmcnt(0)
	v_cmpx_ne_u32_e32 0, v57
	s_cbranch_execz .LBB0_2
; %bb.4:                                ;   in Loop: Header=BB0_3 Depth=1
	v_add_co_u32 v26, s3, s16, v52
	v_add_co_ci_u32_e64 v27, null, s17, 0, s3
	s_mov_b32 s6, 0
	global_load_dword v26, v[26:27], off offset:20
	s_waitcnt vmcnt(0)
	v_ashrrev_i32_e32 v27, 31, v26
	v_lshlrev_b64 v[26:27], 7, v[26:27]
	v_add_co_u32 v26, vcc_lo, v54, v26
	v_add_co_ci_u32_e64 v27, null, v55, v27, vcc_lo
	global_load_dword v58, v[26:27], off
	s_branch .LBB0_7
.LBB0_5:                                ;   in Loop: Header=BB0_7 Depth=2
	s_or_b32 exec_lo, exec_lo, s3
.LBB0_6:                                ;   in Loop: Header=BB0_7 Depth=2
	s_or_b32 exec_lo, exec_lo, s18
	s_add_i32 s6, s6, 1
	s_cmp_lg_u32 s6, 4
	s_cbranch_scc0 .LBB0_2
.LBB0_7:                                ;   Parent Loop BB0_3 Depth=1
                                        ; =>  This Loop Header: Depth=2
                                        ;       Child Loop BB0_42 Depth 3
	s_lshl_b32 s3, s6, 3
	s_mov_b32 s18, exec_lo
	v_bfe_u32 v26, v57, s3, 8
	v_cmpx_ne_u32_e32 0, v26
	s_cbranch_execz .LBB0_6
; %bb.8:                                ;   in Loop: Header=BB0_7 Depth=2
	s_lshl_b64 s[48:49], s[6:7], 2
	s_lshl_b32 s46, 1, s3
	s_add_u32 s48, s16, s48
	s_addc_u32 s49, s17, s49
	v_mov_b32_e32 v61, 0
	s_load_dword s45, s[48:49], 0x0
	s_waitcnt lgkmcnt(0)
	v_lshl_add_u32 v32, s45, 3, v1
	v_ashrrev_i32_e32 v33, 31, v32
	v_lshlrev_b64 v[26:27], 4, v[32:33]
	v_lshlrev_b64 v[28:29], 2, v[32:33]
	v_add_co_u32 v26, vcc_lo, s8, v26
	v_add_co_ci_u32_e64 v27, null, s9, v27, vcc_lo
	v_add_co_u32 v59, vcc_lo, s24, v28
	v_add_co_ci_u32_e64 v60, null, s25, v29, vcc_lo
	global_load_dwordx4 v[26:29], v[26:27], off
	global_load_dword v33, v[59:60], off
	v_and_b32_e32 v59, s46, v57
	v_mov_b32_e32 v60, 0
	v_cmp_ne_u32_e32 vcc_lo, 0, v59
	v_mov_b32_e32 v59, 0
	s_and_saveexec_b32 s47, vcc_lo
	s_cbranch_execz .LBB0_12
; %bb.9:                                ;   in Loop: Header=BB0_7 Depth=2
	ds_read_b96 v[59:61], v35
	s_cmp_lg_u32 s33, s45
	s_cselect_b32 s3, -1, 0
	s_or_b32 s3, s22, s3
	s_waitcnt vmcnt(1) lgkmcnt(0)
	v_sub_f32_e32 v62, v60, v27
	v_sub_f32_e32 v64, v59, v26
	;; [unrolled: 1-line block ×3, first 2 shown]
	v_mov_b32_e32 v59, 0
	v_mov_b32_e32 v61, 0
	v_mul_f32_e32 v65, v62, v62
	v_mov_b32_e32 v60, 0
	v_fmac_f32_e32 v65, v64, v64
	v_fmac_f32_e32 v65, v63, v63
	v_cmp_gt_f32_e32 vcc_lo, s21, v65
	s_and_b32 s3, vcc_lo, s3
	s_and_saveexec_b32 s48, s3
	s_cbranch_execz .LBB0_11
; %bb.10:                               ;   in Loop: Header=BB0_7 Depth=2
	ds_read_b32 v59, v36 offset:1792
	ds_read_b32 v72, v35 offset:12
	v_max_f32_e32 v61, v65, v65
	v_and_b32_e32 v75, s46, v58
	v_max_f32_e32 v61, 0x34cd15ae, v61
	v_cmp_eq_u32_e64 s3, 0, v75
	v_mul_f32_e32 v65, v40, v61
	v_rsq_f32_e32 v61, v61
	v_mul_f32_e32 v66, v65, v65
	s_waitcnt vmcnt(0) lgkmcnt(1)
	v_mad_u64_u32 v[59:60], null, v59, s20, v[33:34]
	v_fmaak_f32 v67, s34, v66, 0x3ded3cb2
	v_fmaak_f32 v68, s35, v66, 0x3f01e2bc
	;; [unrolled: 1-line block ×3, first 2 shown]
	v_mul_f32_e32 v76, v61, v61
	v_fmaak_f32 v77, s44, v66, 0x3a83ca0c
	v_fma_f32 v67, v66, v67, 1.0
	v_ashrrev_i32_e32 v60, 31, v59
	v_mul_f32_e32 v75, v76, v76
	v_fmac_f32_e32 v67, v65, v68
	v_lshlrev_b64 v[59:60], 3, v[59:60]
	v_div_scale_f32 v68, null, v67, v67, 1.0
	v_add_co_u32 v59, vcc_lo, s12, v59
	v_add_co_ci_u32_e64 v60, null, s13, v60, vcc_lo
	v_rcp_f32_e32 v69, v68
	v_div_scale_f32 v71, vcc_lo, 1.0, v67, 1.0
	global_load_dwordx2 v[59:60], v[59:60], off
	v_fma_f32 v70, -v68, v69, 1.0
	v_fmac_f32_e32 v69, v70, v69
	v_mul_f32_e32 v70, v71, v69
	v_fma_f32 v73, -v68, v70, v71
	v_fmac_f32_e32 v70, v73, v69
	v_fmaak_f32 v73, v66, v74, 0xbc9ded90
	v_cndmask_b32_e64 v74, 1.0, 0, s3
	v_fma_f32 v68, -v68, v70, v71
	v_fmaak_f32 v71, v66, v77, 0x3d8eaf3b
	v_fmaak_f32 v66, v66, v73, 0xbf409397
	v_div_fmas_f32 v68, v68, v69, v70
	v_mul_f32_e32 v69, v76, v75
	v_fmac_f32_e32 v66, v65, v71
	v_div_fixup_f32 v65, v68, v67, 1.0
	v_mul_f32_e32 v67, v74, v69
	v_mul_f32_e32 v65, v65, v66
	s_waitcnt lgkmcnt(0)
	v_mul_f32_e32 v66, v29, v72
	v_mul_f32_e32 v65, v48, v65
	s_waitcnt vmcnt(0)
	v_fma_f32 v59, v67, v60, -v59
	v_mul_f32_e32 v60, v74, v76
	v_mul_f32_e32 v59, v67, v59
	v_fmac_f32_e32 v65, v61, v60
	v_mul_f32_e32 v67, v76, v59
	v_fmac_f32_e32 v67, v65, v66
	v_fma_f32 v60, -v64, v67, 0
	v_fma_f32 v61, -v62, v67, 0
	;; [unrolled: 1-line block ×3, first 2 shown]
	v_fma_f32 v2, v64, v67, v2
	v_fma_f32 v10, v62, v67, v10
	;; [unrolled: 1-line block ×3, first 2 shown]
.LBB0_11:                               ;   in Loop: Header=BB0_7 Depth=2
	s_or_b32 exec_lo, exec_lo, s48
.LBB0_12:                               ;   in Loop: Header=BB0_7 Depth=2
	s_or_b32 exec_lo, exec_lo, s47
	s_lshl_b32 s3, s46, 1
	s_mov_b32 s47, exec_lo
	v_and_b32_e32 v62, s3, v57
	v_cmpx_ne_u32_e32 0, v62
	s_cbranch_execz .LBB0_16
; %bb.13:                               ;   in Loop: Header=BB0_7 Depth=2
	ds_read_b96 v[64:66], v37 offset:128
	s_cmp_lg_u32 s36, s45
	s_cselect_b32 s48, -1, 0
	s_or_b32 s48, s22, s48
	s_waitcnt vmcnt(1) lgkmcnt(0)
	v_sub_f32_e32 v62, v65, v27
	v_sub_f32_e32 v64, v64, v26
	;; [unrolled: 1-line block ×3, first 2 shown]
	v_mul_f32_e32 v65, v62, v62
	v_fmac_f32_e32 v65, v64, v64
	v_fmac_f32_e32 v65, v63, v63
	v_cmp_gt_f32_e32 vcc_lo, s21, v65
	s_and_b32 s49, vcc_lo, s48
	s_and_saveexec_b32 s48, s49
	s_cbranch_execz .LBB0_15
; %bb.14:                               ;   in Loop: Header=BB0_7 Depth=2
	ds_read_b32 v66, v38 offset:1824
	ds_read_b32 v75, v37 offset:140
	v_max_f32_e32 v65, v65, v65
	v_and_b32_e32 v78, s3, v58
	v_max_f32_e32 v65, 0x34cd15ae, v65
	v_cmp_eq_u32_e64 s3, 0, v78
	v_mul_f32_e32 v68, v40, v65
	v_rsq_f32_e32 v65, v65
	v_mul_f32_e32 v69, v68, v68
	s_waitcnt vmcnt(0) lgkmcnt(1)
	v_mad_u64_u32 v[66:67], null, v66, s20, v[33:34]
	v_fmaak_f32 v70, s34, v69, 0x3ded3cb2
	v_fmaak_f32 v71, s35, v69, 0x3f01e2bc
	;; [unrolled: 1-line block ×3, first 2 shown]
	v_mul_f32_e32 v79, v65, v65
	v_fmaak_f32 v80, s44, v69, 0x3a83ca0c
	v_fma_f32 v70, v69, v70, 1.0
	v_ashrrev_i32_e32 v67, 31, v66
	v_mul_f32_e32 v78, v79, v79
	v_fmac_f32_e32 v70, v68, v71
	v_lshlrev_b64 v[66:67], 3, v[66:67]
	v_div_scale_f32 v71, null, v70, v70, 1.0
	v_add_co_u32 v66, vcc_lo, s12, v66
	v_add_co_ci_u32_e64 v67, null, s13, v67, vcc_lo
	v_rcp_f32_e32 v72, v71
	v_div_scale_f32 v74, vcc_lo, 1.0, v70, 1.0
	global_load_dwordx2 v[66:67], v[66:67], off
	v_fma_f32 v73, -v71, v72, 1.0
	v_fmac_f32_e32 v72, v73, v72
	v_mul_f32_e32 v73, v74, v72
	v_fma_f32 v76, -v71, v73, v74
	v_fmac_f32_e32 v73, v76, v72
	v_fmaak_f32 v76, v69, v77, 0xbc9ded90
	v_cndmask_b32_e64 v77, 1.0, 0, s3
	v_fma_f32 v71, -v71, v73, v74
	v_fmaak_f32 v74, v69, v80, 0x3d8eaf3b
	v_fmaak_f32 v69, v69, v76, 0xbf409397
	v_div_fmas_f32 v71, v71, v72, v73
	v_mul_f32_e32 v72, v79, v78
	v_fmac_f32_e32 v69, v68, v74
	v_div_fixup_f32 v68, v71, v70, 1.0
	v_mul_f32_e32 v70, v77, v72
	v_mul_f32_e32 v68, v68, v69
	s_waitcnt lgkmcnt(0)
	v_mul_f32_e32 v69, v29, v75
	v_mul_f32_e32 v68, v48, v68
	s_waitcnt vmcnt(0)
	v_fma_f32 v66, v70, v67, -v66
	v_mul_f32_e32 v67, v77, v79
	v_mul_f32_e32 v66, v70, v66
	v_fmac_f32_e32 v68, v65, v67
	v_mul_f32_e32 v65, v79, v66
	v_fmac_f32_e32 v65, v68, v69
	v_fma_f32 v60, -v64, v65, v60
	v_fma_f32 v61, -v62, v65, v61
	;; [unrolled: 1-line block ×3, first 2 shown]
	v_fma_f32 v3, v64, v65, v3
	v_fma_f32 v11, v62, v65, v11
	;; [unrolled: 1-line block ×3, first 2 shown]
.LBB0_15:                               ;   in Loop: Header=BB0_7 Depth=2
	s_or_b32 exec_lo, exec_lo, s48
.LBB0_16:                               ;   in Loop: Header=BB0_7 Depth=2
	s_or_b32 exec_lo, exec_lo, s47
	s_lshl_b32 s3, s46, 2
	s_mov_b32 s47, exec_lo
	v_and_b32_e32 v62, s3, v57
	v_cmpx_ne_u32_e32 0, v62
	s_cbranch_execz .LBB0_20
; %bb.17:                               ;   in Loop: Header=BB0_7 Depth=2
	ds_read_b96 v[64:66], v39 offset:256
	s_cmp_lg_u32 s37, s45
	s_cselect_b32 s48, -1, 0
	s_or_b32 s48, s22, s48
	s_waitcnt vmcnt(1) lgkmcnt(0)
	v_sub_f32_e32 v62, v65, v27
	v_sub_f32_e32 v64, v64, v26
	;; [unrolled: 1-line block ×3, first 2 shown]
	v_mul_f32_e32 v65, v62, v62
	v_fmac_f32_e32 v65, v64, v64
	v_fmac_f32_e32 v65, v63, v63
	v_cmp_gt_f32_e32 vcc_lo, s21, v65
	s_and_b32 s49, vcc_lo, s48
	s_and_saveexec_b32 s48, s49
	s_cbranch_execz .LBB0_19
; %bb.18:                               ;   in Loop: Header=BB0_7 Depth=2
	ds_read_b32 v66, v41 offset:1856
	ds_read_b32 v75, v39 offset:268
	v_max_f32_e32 v65, v65, v65
	v_and_b32_e32 v78, s3, v58
	v_max_f32_e32 v65, 0x34cd15ae, v65
	v_cmp_eq_u32_e64 s3, 0, v78
	v_mul_f32_e32 v68, v40, v65
	v_rsq_f32_e32 v65, v65
	v_mul_f32_e32 v69, v68, v68
	s_waitcnt vmcnt(0) lgkmcnt(1)
	v_mad_u64_u32 v[66:67], null, v66, s20, v[33:34]
	v_fmaak_f32 v70, s34, v69, 0x3ded3cb2
	v_fmaak_f32 v71, s35, v69, 0x3f01e2bc
	;; [unrolled: 1-line block ×3, first 2 shown]
	v_mul_f32_e32 v79, v65, v65
	v_fmaak_f32 v80, s44, v69, 0x3a83ca0c
	v_fma_f32 v70, v69, v70, 1.0
	v_ashrrev_i32_e32 v67, 31, v66
	v_mul_f32_e32 v78, v79, v79
	v_fmac_f32_e32 v70, v68, v71
	v_lshlrev_b64 v[66:67], 3, v[66:67]
	v_div_scale_f32 v71, null, v70, v70, 1.0
	v_add_co_u32 v66, vcc_lo, s12, v66
	v_add_co_ci_u32_e64 v67, null, s13, v67, vcc_lo
	v_rcp_f32_e32 v72, v71
	v_div_scale_f32 v74, vcc_lo, 1.0, v70, 1.0
	global_load_dwordx2 v[66:67], v[66:67], off
	v_fma_f32 v73, -v71, v72, 1.0
	v_fmac_f32_e32 v72, v73, v72
	v_mul_f32_e32 v73, v74, v72
	v_fma_f32 v76, -v71, v73, v74
	v_fmac_f32_e32 v73, v76, v72
	v_fmaak_f32 v76, v69, v77, 0xbc9ded90
	v_cndmask_b32_e64 v77, 1.0, 0, s3
	v_fma_f32 v71, -v71, v73, v74
	v_fmaak_f32 v74, v69, v80, 0x3d8eaf3b
	v_fmaak_f32 v69, v69, v76, 0xbf409397
	v_div_fmas_f32 v71, v71, v72, v73
	v_mul_f32_e32 v72, v79, v78
	v_fmac_f32_e32 v69, v68, v74
	v_div_fixup_f32 v68, v71, v70, 1.0
	v_mul_f32_e32 v70, v77, v72
	v_mul_f32_e32 v68, v68, v69
	s_waitcnt lgkmcnt(0)
	v_mul_f32_e32 v69, v29, v75
	v_mul_f32_e32 v68, v48, v68
	s_waitcnt vmcnt(0)
	v_fma_f32 v66, v70, v67, -v66
	v_mul_f32_e32 v67, v77, v79
	v_mul_f32_e32 v66, v70, v66
	v_fmac_f32_e32 v68, v65, v67
	v_mul_f32_e32 v65, v79, v66
	v_fmac_f32_e32 v65, v68, v69
	v_fma_f32 v60, -v64, v65, v60
	v_fma_f32 v61, -v62, v65, v61
	;; [unrolled: 1-line block ×3, first 2 shown]
	v_fma_f32 v4, v64, v65, v4
	v_fma_f32 v12, v62, v65, v12
	;; [unrolled: 1-line block ×3, first 2 shown]
.LBB0_19:                               ;   in Loop: Header=BB0_7 Depth=2
	s_or_b32 exec_lo, exec_lo, s48
.LBB0_20:                               ;   in Loop: Header=BB0_7 Depth=2
	s_or_b32 exec_lo, exec_lo, s47
	s_lshl_b32 s3, s46, 3
	s_mov_b32 s47, exec_lo
	v_and_b32_e32 v62, s3, v57
	v_cmpx_ne_u32_e32 0, v62
	s_cbranch_execz .LBB0_24
; %bb.21:                               ;   in Loop: Header=BB0_7 Depth=2
	ds_read_b96 v[64:66], v42 offset:384
	s_cmp_lg_u32 s38, s45
	s_cselect_b32 s48, -1, 0
	s_or_b32 s48, s22, s48
	s_waitcnt vmcnt(1) lgkmcnt(0)
	v_sub_f32_e32 v62, v65, v27
	v_sub_f32_e32 v64, v64, v26
	;; [unrolled: 1-line block ×3, first 2 shown]
	v_mul_f32_e32 v65, v62, v62
	v_fmac_f32_e32 v65, v64, v64
	v_fmac_f32_e32 v65, v63, v63
	v_cmp_gt_f32_e32 vcc_lo, s21, v65
	s_and_b32 s49, vcc_lo, s48
	s_and_saveexec_b32 s48, s49
	s_cbranch_execz .LBB0_23
; %bb.22:                               ;   in Loop: Header=BB0_7 Depth=2
	ds_read_b32 v66, v43 offset:1888
	ds_read_b32 v75, v42 offset:396
	v_max_f32_e32 v65, v65, v65
	v_and_b32_e32 v78, s3, v58
	v_max_f32_e32 v65, 0x34cd15ae, v65
	v_cmp_eq_u32_e64 s3, 0, v78
	v_mul_f32_e32 v68, v40, v65
	v_rsq_f32_e32 v65, v65
	v_mul_f32_e32 v69, v68, v68
	s_waitcnt vmcnt(0) lgkmcnt(1)
	v_mad_u64_u32 v[66:67], null, v66, s20, v[33:34]
	v_fmaak_f32 v70, s34, v69, 0x3ded3cb2
	v_fmaak_f32 v71, s35, v69, 0x3f01e2bc
	;; [unrolled: 1-line block ×3, first 2 shown]
	v_mul_f32_e32 v79, v65, v65
	v_fmaak_f32 v80, s44, v69, 0x3a83ca0c
	v_fma_f32 v70, v69, v70, 1.0
	v_ashrrev_i32_e32 v67, 31, v66
	v_mul_f32_e32 v78, v79, v79
	v_fmac_f32_e32 v70, v68, v71
	v_lshlrev_b64 v[66:67], 3, v[66:67]
	v_div_scale_f32 v71, null, v70, v70, 1.0
	v_add_co_u32 v66, vcc_lo, s12, v66
	v_add_co_ci_u32_e64 v67, null, s13, v67, vcc_lo
	v_rcp_f32_e32 v72, v71
	v_div_scale_f32 v74, vcc_lo, 1.0, v70, 1.0
	global_load_dwordx2 v[66:67], v[66:67], off
	v_fma_f32 v73, -v71, v72, 1.0
	v_fmac_f32_e32 v72, v73, v72
	v_mul_f32_e32 v73, v74, v72
	v_fma_f32 v76, -v71, v73, v74
	v_fmac_f32_e32 v73, v76, v72
	v_fmaak_f32 v76, v69, v77, 0xbc9ded90
	v_cndmask_b32_e64 v77, 1.0, 0, s3
	v_fma_f32 v71, -v71, v73, v74
	v_fmaak_f32 v74, v69, v80, 0x3d8eaf3b
	v_fmaak_f32 v69, v69, v76, 0xbf409397
	v_div_fmas_f32 v71, v71, v72, v73
	v_mul_f32_e32 v72, v79, v78
	v_fmac_f32_e32 v69, v68, v74
	v_div_fixup_f32 v68, v71, v70, 1.0
	v_mul_f32_e32 v70, v77, v72
	v_mul_f32_e32 v68, v68, v69
	s_waitcnt lgkmcnt(0)
	v_mul_f32_e32 v69, v29, v75
	v_mul_f32_e32 v68, v48, v68
	s_waitcnt vmcnt(0)
	v_fma_f32 v66, v70, v67, -v66
	v_mul_f32_e32 v67, v77, v79
	v_mul_f32_e32 v66, v70, v66
	v_fmac_f32_e32 v68, v65, v67
	v_mul_f32_e32 v65, v79, v66
	v_fmac_f32_e32 v65, v68, v69
	v_fma_f32 v60, -v64, v65, v60
	v_fma_f32 v61, -v62, v65, v61
	;; [unrolled: 1-line block ×3, first 2 shown]
	v_fma_f32 v5, v64, v65, v5
	v_fma_f32 v13, v62, v65, v13
	;; [unrolled: 1-line block ×3, first 2 shown]
.LBB0_23:                               ;   in Loop: Header=BB0_7 Depth=2
	s_or_b32 exec_lo, exec_lo, s48
.LBB0_24:                               ;   in Loop: Header=BB0_7 Depth=2
	s_or_b32 exec_lo, exec_lo, s47
	s_lshl_b32 s3, s46, 4
	s_mov_b32 s47, exec_lo
	v_and_b32_e32 v62, s3, v57
	v_cmpx_ne_u32_e32 0, v62
	s_cbranch_execz .LBB0_28
; %bb.25:                               ;   in Loop: Header=BB0_7 Depth=2
	ds_read_b96 v[64:66], v44 offset:512
	s_cmp_lg_u32 s39, s45
	s_cselect_b32 s48, -1, 0
	s_or_b32 s48, s22, s48
	s_waitcnt vmcnt(1) lgkmcnt(0)
	v_sub_f32_e32 v62, v65, v27
	v_sub_f32_e32 v64, v64, v26
	;; [unrolled: 1-line block ×3, first 2 shown]
	v_mul_f32_e32 v65, v62, v62
	v_fmac_f32_e32 v65, v64, v64
	v_fmac_f32_e32 v65, v63, v63
	v_cmp_gt_f32_e32 vcc_lo, s21, v65
	s_and_b32 s49, vcc_lo, s48
	s_and_saveexec_b32 s48, s49
	s_cbranch_execz .LBB0_27
; %bb.26:                               ;   in Loop: Header=BB0_7 Depth=2
	ds_read_b32 v66, v46 offset:1920
	v_max_f32_e32 v65, v65, v65
	v_and_b32_e32 v78, s3, v58
	ds_read_b32 v75, v44 offset:524
	v_max_f32_e32 v65, 0x34cd15ae, v65
	v_cmp_eq_u32_e64 s3, 0, v78
	v_mul_f32_e32 v68, v40, v65
	v_rsq_f32_e32 v65, v65
	v_mul_f32_e32 v69, v68, v68
	s_waitcnt vmcnt(0) lgkmcnt(1)
	v_mad_u64_u32 v[66:67], null, v66, s20, v[33:34]
	v_fmaak_f32 v70, s34, v69, 0x3ded3cb2
	v_fmaak_f32 v71, s35, v69, 0x3f01e2bc
	;; [unrolled: 1-line block ×3, first 2 shown]
	v_mul_f32_e32 v79, v65, v65
	v_fmaak_f32 v80, s44, v69, 0x3a83ca0c
	v_fma_f32 v70, v69, v70, 1.0
	v_ashrrev_i32_e32 v67, 31, v66
	v_mul_f32_e32 v78, v79, v79
	v_fmac_f32_e32 v70, v68, v71
	v_lshlrev_b64 v[66:67], 3, v[66:67]
	v_div_scale_f32 v71, null, v70, v70, 1.0
	v_add_co_u32 v66, vcc_lo, s12, v66
	v_add_co_ci_u32_e64 v67, null, s13, v67, vcc_lo
	v_rcp_f32_e32 v72, v71
	v_div_scale_f32 v74, vcc_lo, 1.0, v70, 1.0
	global_load_dwordx2 v[66:67], v[66:67], off
	v_fma_f32 v73, -v71, v72, 1.0
	v_fmac_f32_e32 v72, v73, v72
	v_mul_f32_e32 v73, v74, v72
	v_fma_f32 v76, -v71, v73, v74
	v_fmac_f32_e32 v73, v76, v72
	v_fmaak_f32 v76, v69, v77, 0xbc9ded90
	v_cndmask_b32_e64 v77, 1.0, 0, s3
	v_fma_f32 v71, -v71, v73, v74
	v_fmaak_f32 v74, v69, v80, 0x3d8eaf3b
	v_fmaak_f32 v69, v69, v76, 0xbf409397
	v_div_fmas_f32 v71, v71, v72, v73
	v_mul_f32_e32 v72, v79, v78
	v_fmac_f32_e32 v69, v68, v74
	v_div_fixup_f32 v68, v71, v70, 1.0
	v_mul_f32_e32 v70, v77, v72
	v_mul_f32_e32 v68, v68, v69
	s_waitcnt lgkmcnt(0)
	v_mul_f32_e32 v69, v29, v75
	v_mul_f32_e32 v68, v48, v68
	s_waitcnt vmcnt(0)
	v_fma_f32 v66, v70, v67, -v66
	v_mul_f32_e32 v67, v77, v79
	v_mul_f32_e32 v66, v70, v66
	v_fmac_f32_e32 v68, v65, v67
	v_mul_f32_e32 v65, v79, v66
	v_fmac_f32_e32 v65, v68, v69
	v_fma_f32 v60, -v64, v65, v60
	v_fma_f32 v61, -v62, v65, v61
	;; [unrolled: 1-line block ×3, first 2 shown]
	v_fma_f32 v6, v64, v65, v6
	v_fma_f32 v14, v62, v65, v14
	;; [unrolled: 1-line block ×3, first 2 shown]
.LBB0_27:                               ;   in Loop: Header=BB0_7 Depth=2
	s_or_b32 exec_lo, exec_lo, s48
.LBB0_28:                               ;   in Loop: Header=BB0_7 Depth=2
	s_or_b32 exec_lo, exec_lo, s47
	s_lshl_b32 s3, s46, 5
	s_mov_b32 s47, exec_lo
	v_and_b32_e32 v62, s3, v57
	v_cmpx_ne_u32_e32 0, v62
	s_cbranch_execz .LBB0_32
; %bb.29:                               ;   in Loop: Header=BB0_7 Depth=2
	ds_read_b96 v[64:66], v47 offset:640
	s_cmp_lg_u32 s40, s45
	s_cselect_b32 s48, -1, 0
	s_or_b32 s48, s22, s48
	s_waitcnt vmcnt(1) lgkmcnt(0)
	v_sub_f32_e32 v62, v65, v27
	v_sub_f32_e32 v64, v64, v26
	;; [unrolled: 1-line block ×3, first 2 shown]
	v_mul_f32_e32 v65, v62, v62
	v_fmac_f32_e32 v65, v64, v64
	v_fmac_f32_e32 v65, v63, v63
	v_cmp_gt_f32_e32 vcc_lo, s21, v65
	s_and_b32 s49, vcc_lo, s48
	s_and_saveexec_b32 s48, s49
	s_cbranch_execz .LBB0_31
; %bb.30:                               ;   in Loop: Header=BB0_7 Depth=2
	ds_read_b32 v66, v49 offset:1952
	v_max_f32_e32 v65, v65, v65
	v_and_b32_e32 v78, s3, v58
	ds_read_b32 v75, v47 offset:652
	v_max_f32_e32 v65, 0x34cd15ae, v65
	v_cmp_eq_u32_e64 s3, 0, v78
	v_mul_f32_e32 v68, v40, v65
	v_rsq_f32_e32 v65, v65
	v_mul_f32_e32 v69, v68, v68
	s_waitcnt vmcnt(0) lgkmcnt(1)
	v_mad_u64_u32 v[66:67], null, v66, s20, v[33:34]
	v_fmaak_f32 v70, s34, v69, 0x3ded3cb2
	v_fmaak_f32 v71, s35, v69, 0x3f01e2bc
	;; [unrolled: 1-line block ×3, first 2 shown]
	v_mul_f32_e32 v79, v65, v65
	v_fmaak_f32 v80, s44, v69, 0x3a83ca0c
	v_fma_f32 v70, v69, v70, 1.0
	v_ashrrev_i32_e32 v67, 31, v66
	v_mul_f32_e32 v78, v79, v79
	v_fmac_f32_e32 v70, v68, v71
	v_lshlrev_b64 v[66:67], 3, v[66:67]
	v_div_scale_f32 v71, null, v70, v70, 1.0
	v_add_co_u32 v66, vcc_lo, s12, v66
	v_add_co_ci_u32_e64 v67, null, s13, v67, vcc_lo
	v_rcp_f32_e32 v72, v71
	v_div_scale_f32 v74, vcc_lo, 1.0, v70, 1.0
	global_load_dwordx2 v[66:67], v[66:67], off
	v_fma_f32 v73, -v71, v72, 1.0
	v_fmac_f32_e32 v72, v73, v72
	v_mul_f32_e32 v73, v74, v72
	v_fma_f32 v76, -v71, v73, v74
	v_fmac_f32_e32 v73, v76, v72
	v_fmaak_f32 v76, v69, v77, 0xbc9ded90
	v_cndmask_b32_e64 v77, 1.0, 0, s3
	v_fma_f32 v71, -v71, v73, v74
	v_fmaak_f32 v74, v69, v80, 0x3d8eaf3b
	v_fmaak_f32 v69, v69, v76, 0xbf409397
	v_div_fmas_f32 v71, v71, v72, v73
	v_mul_f32_e32 v72, v79, v78
	v_fmac_f32_e32 v69, v68, v74
	v_div_fixup_f32 v68, v71, v70, 1.0
	v_mul_f32_e32 v70, v77, v72
	v_mul_f32_e32 v68, v68, v69
	s_waitcnt lgkmcnt(0)
	v_mul_f32_e32 v69, v29, v75
	v_mul_f32_e32 v68, v48, v68
	s_waitcnt vmcnt(0)
	v_fma_f32 v66, v70, v67, -v66
	v_mul_f32_e32 v67, v77, v79
	v_mul_f32_e32 v66, v70, v66
	v_fmac_f32_e32 v68, v65, v67
	v_mul_f32_e32 v65, v79, v66
	v_fmac_f32_e32 v65, v68, v69
	v_fma_f32 v60, -v64, v65, v60
	v_fma_f32 v61, -v62, v65, v61
	;; [unrolled: 1-line block ×3, first 2 shown]
	v_fma_f32 v7, v64, v65, v7
	v_fma_f32 v15, v62, v65, v15
	;; [unrolled: 1-line block ×3, first 2 shown]
.LBB0_31:                               ;   in Loop: Header=BB0_7 Depth=2
	s_or_b32 exec_lo, exec_lo, s48
.LBB0_32:                               ;   in Loop: Header=BB0_7 Depth=2
	s_or_b32 exec_lo, exec_lo, s47
	s_lshl_b32 s3, s46, 6
	s_mov_b32 s47, exec_lo
	v_and_b32_e32 v62, s3, v57
	v_cmpx_ne_u32_e32 0, v62
	s_cbranch_execz .LBB0_36
; %bb.33:                               ;   in Loop: Header=BB0_7 Depth=2
	ds_read_b96 v[64:66], v50 offset:768
	s_cmp_lg_u32 s41, s45
	s_cselect_b32 s48, -1, 0
	s_or_b32 s48, s22, s48
	s_waitcnt vmcnt(1) lgkmcnt(0)
	v_sub_f32_e32 v62, v65, v27
	v_sub_f32_e32 v64, v64, v26
	;; [unrolled: 1-line block ×3, first 2 shown]
	v_mul_f32_e32 v65, v62, v62
	v_fmac_f32_e32 v65, v64, v64
	v_fmac_f32_e32 v65, v63, v63
	v_cmp_gt_f32_e32 vcc_lo, s21, v65
	s_and_b32 s49, vcc_lo, s48
	s_and_saveexec_b32 s48, s49
	s_cbranch_execz .LBB0_35
; %bb.34:                               ;   in Loop: Header=BB0_7 Depth=2
	ds_read_b32 v66, v51 offset:1984
	v_max_f32_e32 v65, v65, v65
	v_and_b32_e32 v78, s3, v58
	ds_read_b32 v75, v50 offset:780
	v_max_f32_e32 v65, 0x34cd15ae, v65
	v_cmp_eq_u32_e64 s3, 0, v78
	v_mul_f32_e32 v68, v40, v65
	v_rsq_f32_e32 v65, v65
	v_mul_f32_e32 v69, v68, v68
	s_waitcnt vmcnt(0) lgkmcnt(1)
	v_mad_u64_u32 v[66:67], null, v66, s20, v[33:34]
	v_fmaak_f32 v70, s34, v69, 0x3ded3cb2
	v_fmaak_f32 v71, s35, v69, 0x3f01e2bc
	;; [unrolled: 1-line block ×3, first 2 shown]
	v_mul_f32_e32 v79, v65, v65
	v_fmaak_f32 v80, s44, v69, 0x3a83ca0c
	v_fma_f32 v70, v69, v70, 1.0
	v_ashrrev_i32_e32 v67, 31, v66
	v_mul_f32_e32 v78, v79, v79
	v_fmac_f32_e32 v70, v68, v71
	v_lshlrev_b64 v[66:67], 3, v[66:67]
	v_div_scale_f32 v71, null, v70, v70, 1.0
	v_add_co_u32 v66, vcc_lo, s12, v66
	v_add_co_ci_u32_e64 v67, null, s13, v67, vcc_lo
	v_rcp_f32_e32 v72, v71
	v_div_scale_f32 v74, vcc_lo, 1.0, v70, 1.0
	global_load_dwordx2 v[66:67], v[66:67], off
	v_fma_f32 v73, -v71, v72, 1.0
	v_fmac_f32_e32 v72, v73, v72
	v_mul_f32_e32 v73, v74, v72
	v_fma_f32 v76, -v71, v73, v74
	v_fmac_f32_e32 v73, v76, v72
	v_fmaak_f32 v76, v69, v77, 0xbc9ded90
	v_cndmask_b32_e64 v77, 1.0, 0, s3
	v_fma_f32 v71, -v71, v73, v74
	v_fmaak_f32 v74, v69, v80, 0x3d8eaf3b
	v_fmaak_f32 v69, v69, v76, 0xbf409397
	v_div_fmas_f32 v71, v71, v72, v73
	v_mul_f32_e32 v72, v79, v78
	v_fmac_f32_e32 v69, v68, v74
	v_div_fixup_f32 v68, v71, v70, 1.0
	v_mul_f32_e32 v70, v77, v72
	v_mul_f32_e32 v68, v68, v69
	s_waitcnt lgkmcnt(0)
	v_mul_f32_e32 v69, v29, v75
	v_mul_f32_e32 v68, v48, v68
	s_waitcnt vmcnt(0)
	v_fma_f32 v66, v70, v67, -v66
	v_mul_f32_e32 v67, v77, v79
	v_mul_f32_e32 v66, v70, v66
	v_fmac_f32_e32 v68, v65, v67
	v_mul_f32_e32 v65, v79, v66
	v_fmac_f32_e32 v65, v68, v69
	v_fma_f32 v60, -v64, v65, v60
	v_fma_f32 v61, -v62, v65, v61
	;; [unrolled: 1-line block ×3, first 2 shown]
	v_fma_f32 v8, v64, v65, v8
	v_fma_f32 v16, v62, v65, v16
	;; [unrolled: 1-line block ×3, first 2 shown]
.LBB0_35:                               ;   in Loop: Header=BB0_7 Depth=2
	s_or_b32 exec_lo, exec_lo, s48
.LBB0_36:                               ;   in Loop: Header=BB0_7 Depth=2
	s_or_b32 exec_lo, exec_lo, s47
	s_lshl_b32 s3, s46, 7
	s_mov_b32 s46, exec_lo
	v_and_b32_e32 v62, s3, v57
	v_cmpx_ne_u32_e32 0, v62
	s_cbranch_execz .LBB0_40
; %bb.37:                               ;   in Loop: Header=BB0_7 Depth=2
	ds_read_b96 v[62:64], v53 offset:896
	s_cmp_lg_u32 s42, s45
	s_cselect_b32 s45, -1, 0
	s_or_b32 s45, s22, s45
	s_waitcnt vmcnt(1) lgkmcnt(0)
	v_sub_f32_e32 v27, v63, v27
	v_sub_f32_e32 v62, v62, v26
	v_sub_f32_e32 v26, v64, v28
	v_mul_f32_e32 v63, v27, v27
	v_fmac_f32_e32 v63, v62, v62
	v_fmac_f32_e32 v63, v26, v26
	v_cmp_gt_f32_e32 vcc_lo, s21, v63
	s_and_b32 s47, vcc_lo, s45
	s_and_saveexec_b32 s45, s47
	s_cbranch_execz .LBB0_39
; %bb.38:                               ;   in Loop: Header=BB0_7 Depth=2
	ds_read_b32 v28, v56 offset:2016
	v_and_b32_e32 v74, s3, v58
	ds_read_b32 v71, v53 offset:908
	v_cmp_eq_u32_e64 s3, 0, v74
	s_waitcnt vmcnt(0) lgkmcnt(1)
	v_mad_u64_u32 v[64:65], null, v28, s20, v[33:34]
	v_max_f32_e32 v28, v63, v63
	s_waitcnt lgkmcnt(0)
	v_mul_f32_e32 v29, v29, v71
	v_max_f32_e32 v28, 0x34cd15ae, v28
	v_ashrrev_i32_e32 v65, 31, v64
	v_mul_f32_e32 v33, v40, v28
	v_lshlrev_b64 v[64:65], 3, v[64:65]
	v_rsq_f32_e32 v28, v28
	v_mul_f32_e32 v63, v33, v33
	v_add_co_u32 v64, vcc_lo, s12, v64
	v_add_co_ci_u32_e64 v65, null, s13, v65, vcc_lo
	v_fmaak_f32 v66, s34, v63, 0x3ded3cb2
	v_fmaak_f32 v67, s35, v63, 0x3f01e2bc
	;; [unrolled: 1-line block ×3, first 2 shown]
	global_load_dwordx2 v[64:65], v[64:65], off
	v_mul_f32_e32 v75, v28, v28
	v_fma_f32 v66, v63, v66, 1.0
	v_fmaak_f32 v76, s44, v63, 0x3a83ca0c
	v_mul_f32_e32 v74, v75, v75
	v_fmac_f32_e32 v66, v33, v67
	v_div_scale_f32 v67, null, v66, v66, 1.0
	v_div_scale_f32 v70, vcc_lo, 1.0, v66, 1.0
	v_rcp_f32_e32 v68, v67
	v_fma_f32 v69, -v67, v68, 1.0
	v_fmac_f32_e32 v68, v69, v68
	v_mul_f32_e32 v69, v70, v68
	v_fma_f32 v72, -v67, v69, v70
	v_fmac_f32_e32 v69, v72, v68
	v_fmaak_f32 v72, v63, v73, 0xbc9ded90
	v_cndmask_b32_e64 v73, 1.0, 0, s3
	v_fma_f32 v67, -v67, v69, v70
	v_fmaak_f32 v70, v63, v76, 0x3d8eaf3b
	v_fmaak_f32 v63, v63, v72, 0xbf409397
	v_div_fmas_f32 v67, v67, v68, v69
	v_mul_f32_e32 v68, v75, v74
	v_fmac_f32_e32 v63, v33, v70
	v_div_fixup_f32 v33, v67, v66, 1.0
	v_mul_f32_e32 v66, v73, v68
	v_mul_f32_e32 v33, v33, v63
	;; [unrolled: 1-line block ×3, first 2 shown]
	s_waitcnt vmcnt(0)
	v_fma_f32 v63, v66, v65, -v64
	v_mul_f32_e32 v64, v73, v75
	v_mul_f32_e32 v63, v66, v63
	v_fmac_f32_e32 v33, v28, v64
	v_mul_f32_e32 v28, v75, v63
	v_fmac_f32_e32 v28, v33, v29
	v_fma_f32 v60, -v62, v28, v60
	v_fma_f32 v61, -v27, v28, v61
	;; [unrolled: 1-line block ×3, first 2 shown]
	v_fma_f32 v9, v62, v28, v9
	v_fma_f32 v17, v27, v28, v17
	v_fma_f32 v25, v26, v28, v25
.LBB0_39:                               ;   in Loop: Header=BB0_7 Depth=2
	s_or_b32 exec_lo, exec_lo, s45
.LBB0_40:                               ;   in Loop: Header=BB0_7 Depth=2
	s_or_b32 exec_lo, exec_lo, s46
	s_waitcnt vmcnt(1)
	v_add_nc_u32_e32 v26, -1, v45
	v_cmp_ne_u32_e32 vcc_lo, 31, v45
	v_add_nc_u32_e32 v29, -2, v45
	v_add_co_ci_u32_e64 v27, null, 0, v45, vcc_lo
	v_cmp_gt_i32_e32 vcc_lo, 0, v26
	v_lshlrev_b32_e32 v27, 2, v27
	v_cndmask_b32_e32 v26, v26, v45, vcc_lo
	v_cmp_gt_u32_e32 vcc_lo, 30, v45
	ds_bpermute_b32 v28, v27, v60
	ds_bpermute_b32 v27, v27, v59
	v_lshlrev_b32_e32 v26, 2, v26
	s_waitcnt vmcnt(0)
	v_cndmask_b32_e64 v33, 0, 2, vcc_lo
	v_cmp_gt_i32_e32 vcc_lo, 0, v29
	ds_bpermute_b32 v26, v26, v61
	v_add_lshl_u32 v33, v33, v45, 2
	v_cndmask_b32_e32 v29, v29, v45, vcc_lo
	v_cmp_gt_u32_e32 vcc_lo, 28, v45
	v_lshlrev_b32_e32 v29, 2, v29
	s_waitcnt lgkmcnt(2)
	v_add_f32_e32 v28, v60, v28
	s_waitcnt lgkmcnt(1)
	v_add_f32_e32 v27, v59, v27
	;; [unrolled: 2-line block ×3, first 2 shown]
	v_cndmask_b32_e64 v26, v26, v28, s1
	ds_bpermute_b32 v28, v29, v27
	ds_bpermute_b32 v29, v33, v26
	s_waitcnt lgkmcnt(1)
	v_add_f32_e32 v27, v27, v28
	s_waitcnt lgkmcnt(0)
	v_add_f32_e32 v26, v26, v29
	v_cndmask_b32_e64 v29, 0, 4, vcc_lo
	v_cndmask_b32_e64 v28, v27, v26, s2
	v_add_lshl_u32 v26, v29, v45, 2
	ds_bpermute_b32 v33, v26, v28
	s_and_saveexec_b32 s3, s0
	s_xor_b32 s3, exec_lo, s3
	s_cbranch_execz .LBB0_5
; %bb.41:                               ;   in Loop: Header=BB0_7 Depth=2
	v_mad_i64_i32 v[26:27], null, v32, 12, v[30:31]
	s_waitcnt lgkmcnt(0)
	v_add_f32_e32 v32, v28, v33
	s_mov_b32 s45, 0
	global_load_dword v29, v[26:27], off
.LBB0_42:                               ;   Parent Loop BB0_3 Depth=1
                                        ;     Parent Loop BB0_7 Depth=2
                                        ; =>    This Inner Loop Header: Depth=3
	s_waitcnt vmcnt(0)
	v_add_f32_e32 v28, v29, v32
	global_atomic_cmpswap v28, v[26:27], v[28:29], off glc
	s_waitcnt vmcnt(0)
	v_cmp_eq_u32_e32 vcc_lo, v28, v29
	v_mov_b32_e32 v29, v28
	s_or_b32 s45, vcc_lo, s45
	s_andn2_b32 exec_lo, exec_lo, s45
	s_cbranch_execnz .LBB0_42
; %bb.43:                               ;   in Loop: Header=BB0_7 Depth=2
	s_or_b32 exec_lo, exec_lo, s45
	s_branch .LBB0_5
.LBB0_44:
	v_mov_b32_e32 v2, 0
	v_mov_b32_e32 v9, v2
	;; [unrolled: 1-line block ×24, first 2 shown]
.LBB0_45:
	v_lshlrev_b32_e32 v30, 2, v34
	v_cmp_gt_u32_e64 s1, 4, v1
	ds_write2st64_b32 v30, v2, v10 offset0:4 offset1:5
	ds_write_b32 v30, v18 offset:1536
	s_waitcnt vmcnt(0) lgkmcnt(0)
	s_barrier
	buffer_gl0_inv
	s_and_saveexec_b32 s0, s1
	s_cbranch_execz .LBB0_47
; %bb.46:
	v_add_nc_u32_e32 v2, 0x400, v30
	ds_read2_b32 v[26:27], v2 offset1:32
	ds_read2_b32 v[28:29], v2 offset0:64 offset1:96
	ds_read2_b32 v[31:32], v2 offset0:128 offset1:160
	s_waitcnt lgkmcnt(2)
	v_add_f32_e32 v2, v27, v26
	s_waitcnt lgkmcnt(1)
	v_add_f32_e32 v10, v29, v28
	;; [unrolled: 2-line block ×3, first 2 shown]
	ds_write2st64_b32 v30, v2, v10 offset0:4 offset1:5
	ds_write_b32 v30, v18 offset:1536
.LBB0_47:
	s_or_b32 exec_lo, exec_lo, s0
	v_cmp_gt_u32_e64 s2, 2, v1
	s_waitcnt lgkmcnt(0)
	s_barrier
	buffer_gl0_inv
	s_and_saveexec_b32 s0, s2
	s_cbranch_execz .LBB0_49
; %bb.48:
	v_add_nc_u32_e32 v2, 0x400, v30
	ds_read2_b32 v[26:27], v2 offset1:16
	ds_read2_b32 v[28:29], v2 offset0:64 offset1:80
	ds_read2_b32 v[31:32], v2 offset0:128 offset1:144
	s_waitcnt lgkmcnt(2)
	v_add_f32_e32 v2, v27, v26
	s_waitcnt lgkmcnt(1)
	v_add_f32_e32 v10, v29, v28
	;; [unrolled: 2-line block ×3, first 2 shown]
	ds_write2st64_b32 v30, v2, v10 offset0:4 offset1:5
	ds_write_b32 v30, v18 offset:1536
.LBB0_49:
	s_or_b32 exec_lo, exec_lo, s0
	v_lshlrev_b32_e32 v2, 8, v1
	v_lshlrev_b32_e32 v18, 2, v1
	v_add_nc_u32_e32 v32, s30, v0
	s_bitcmp1_b32 s31, 0
	v_cmp_gt_u32_e32 vcc_lo, 3, v1
	v_lshl_add_u32 v31, v0, 2, v2
	v_add_co_u32 v0, s3, s10, v18
	v_mov_b32_e32 v26, 0
	v_add_co_ci_u32_e64 v1, null, s11, 0, s3
	s_cselect_b32 s0, -1, 0
	s_waitcnt lgkmcnt(0)
	s_and_b32 s0, s0, s23
	s_barrier
	buffer_gl0_inv
	s_and_saveexec_b32 s4, vcc_lo
	s_cbranch_execz .LBB0_53
; %bb.50:
	v_mad_i64_i32 v[26:27], null, v32, 12, v[0:1]
	v_add_nc_u32_e32 v2, 0x400, v31
	s_mov_b32 s5, 0
	ds_read2_b32 v[33:34], v2 offset1:8
	global_load_dword v29, v[26:27], off
	s_waitcnt lgkmcnt(0)
	v_add_f32_e32 v2, v33, v34
.LBB0_51:                               ; =>This Inner Loop Header: Depth=1
	s_waitcnt vmcnt(0)
	v_add_f32_e32 v28, v29, v2
	global_atomic_cmpswap v10, v[26:27], v[28:29], off glc
	s_waitcnt vmcnt(0)
	v_cmp_eq_u32_e64 s3, v10, v29
	v_mov_b32_e32 v29, v10
	s_or_b32 s5, s3, s5
	s_andn2_b32 exec_lo, exec_lo, s5
	s_cbranch_execnz .LBB0_51
; %bb.52:
	s_or_b32 exec_lo, exec_lo, s5
	v_add_f32_e32 v2, 0, v2
	v_cndmask_b32_e64 v26, 0, v2, s0
.LBB0_53:
	s_or_b32 exec_lo, exec_lo, s4
	s_barrier
	buffer_gl0_inv
	ds_write2st64_b32 v30, v3, v11 offset0:4 offset1:5
	ds_write_b32 v30, v19 offset:1536
	s_waitcnt lgkmcnt(0)
	s_barrier
	buffer_gl0_inv
	s_and_saveexec_b32 s3, s1
	s_cbranch_execz .LBB0_55
; %bb.54:
	v_add_nc_u32_e32 v19, 0x400, v30
	ds_read2_b32 v[2:3], v19 offset1:32
	ds_read2_b32 v[10:11], v19 offset0:64 offset1:96
	ds_read2_b32 v[27:28], v19 offset0:128 offset1:160
	s_waitcnt lgkmcnt(2)
	v_add_f32_e32 v2, v3, v2
	s_waitcnt lgkmcnt(1)
	v_add_f32_e32 v3, v11, v10
	;; [unrolled: 2-line block ×3, first 2 shown]
	ds_write2st64_b32 v30, v2, v3 offset0:4 offset1:5
	ds_write_b32 v30, v10 offset:1536
.LBB0_55:
	s_or_b32 exec_lo, exec_lo, s3
	s_waitcnt lgkmcnt(0)
	s_barrier
	buffer_gl0_inv
	s_and_saveexec_b32 s3, s2
	s_cbranch_execz .LBB0_57
; %bb.56:
	v_add_nc_u32_e32 v19, 0x400, v30
	ds_read2_b32 v[2:3], v19 offset1:16
	ds_read2_b32 v[10:11], v19 offset0:64 offset1:80
	ds_read2_b32 v[27:28], v19 offset0:128 offset1:144
	s_waitcnt lgkmcnt(2)
	v_add_f32_e32 v2, v3, v2
	s_waitcnt lgkmcnt(1)
	v_add_f32_e32 v3, v11, v10
	;; [unrolled: 2-line block ×3, first 2 shown]
	ds_write2st64_b32 v30, v2, v3 offset0:4 offset1:5
	ds_write_b32 v30, v10 offset:1536
.LBB0_57:
	s_or_b32 exec_lo, exec_lo, s3
	s_waitcnt lgkmcnt(0)
	s_barrier
	buffer_gl0_inv
	s_and_saveexec_b32 s4, vcc_lo
	s_cbranch_execz .LBB0_61
; %bb.58:
	v_add_nc_u32_e32 v2, 8, v32
	v_add_nc_u32_e32 v10, 0x400, v31
	s_mov_b32 s5, 0
	v_mad_i64_i32 v[2:3], null, v2, 12, v[0:1]
	ds_read2_b32 v[27:28], v10 offset1:8
	global_load_dword v11, v[2:3], off
	s_waitcnt lgkmcnt(0)
	v_add_f32_e32 v19, v27, v28
.LBB0_59:                               ; =>This Inner Loop Header: Depth=1
	s_waitcnt vmcnt(0)
	v_add_f32_e32 v10, v11, v19
	global_atomic_cmpswap v10, v[2:3], v[10:11], off glc
	s_waitcnt vmcnt(0)
	v_cmp_eq_u32_e64 s3, v10, v11
	v_mov_b32_e32 v11, v10
	s_or_b32 s5, s3, s5
	s_andn2_b32 exec_lo, exec_lo, s5
	s_cbranch_execnz .LBB0_59
; %bb.60:
	s_or_b32 exec_lo, exec_lo, s5
	v_add_f32_e32 v2, v26, v19
	v_cndmask_b32_e64 v26, v26, v2, s0
.LBB0_61:
	s_or_b32 exec_lo, exec_lo, s4
	s_barrier
	buffer_gl0_inv
	ds_write2st64_b32 v30, v4, v12 offset0:4 offset1:5
	ds_write_b32 v30, v20 offset:1536
	s_waitcnt lgkmcnt(0)
	s_barrier
	buffer_gl0_inv
	s_and_saveexec_b32 s3, s1
	s_cbranch_execz .LBB0_63
; %bb.62:
	v_add_nc_u32_e32 v4, 0x400, v30
	ds_read2_b32 v[2:3], v4 offset1:32
	ds_read2_b32 v[10:11], v4 offset0:64 offset1:96
	ds_read2_b32 v[19:20], v4 offset0:128 offset1:160
	s_waitcnt lgkmcnt(2)
	v_add_f32_e32 v2, v3, v2
	s_waitcnt lgkmcnt(1)
	v_add_f32_e32 v3, v11, v10
	;; [unrolled: 2-line block ×3, first 2 shown]
	ds_write2st64_b32 v30, v2, v3 offset0:4 offset1:5
	ds_write_b32 v30, v4 offset:1536
.LBB0_63:
	s_or_b32 exec_lo, exec_lo, s3
	s_waitcnt lgkmcnt(0)
	s_barrier
	buffer_gl0_inv
	s_and_saveexec_b32 s3, s2
	s_cbranch_execz .LBB0_65
; %bb.64:
	v_add_nc_u32_e32 v4, 0x400, v30
	ds_read2_b32 v[2:3], v4 offset1:16
	ds_read2_b32 v[10:11], v4 offset0:64 offset1:80
	ds_read2_b32 v[19:20], v4 offset0:128 offset1:144
	s_waitcnt lgkmcnt(2)
	v_add_f32_e32 v2, v3, v2
	s_waitcnt lgkmcnt(1)
	v_add_f32_e32 v3, v11, v10
	;; [unrolled: 2-line block ×3, first 2 shown]
	ds_write2st64_b32 v30, v2, v3 offset0:4 offset1:5
	ds_write_b32 v30, v4 offset:1536
.LBB0_65:
	s_or_b32 exec_lo, exec_lo, s3
	s_waitcnt lgkmcnt(0)
	s_barrier
	buffer_gl0_inv
	s_and_saveexec_b32 s4, vcc_lo
	s_cbranch_execz .LBB0_69
; %bb.66:
	v_add_nc_u32_e32 v2, 16, v32
	v_add_nc_u32_e32 v4, 0x400, v31
	s_mov_b32 s5, 0
	v_mad_i64_i32 v[2:3], null, v2, 12, v[0:1]
	ds_read2_b32 v[19:20], v4 offset1:8
	global_load_dword v11, v[2:3], off
	s_waitcnt lgkmcnt(0)
	v_add_f32_e32 v4, v19, v20
.LBB0_67:                               ; =>This Inner Loop Header: Depth=1
	s_waitcnt vmcnt(0)
	v_add_f32_e32 v10, v11, v4
	global_atomic_cmpswap v10, v[2:3], v[10:11], off glc
	s_waitcnt vmcnt(0)
	v_cmp_eq_u32_e64 s3, v10, v11
	v_mov_b32_e32 v11, v10
	s_or_b32 s5, s3, s5
	s_andn2_b32 exec_lo, exec_lo, s5
	s_cbranch_execnz .LBB0_67
; %bb.68:
	s_or_b32 exec_lo, exec_lo, s5
	v_add_f32_e32 v2, v26, v4
	v_cndmask_b32_e64 v26, v26, v2, s0
.LBB0_69:
	s_or_b32 exec_lo, exec_lo, s4
	s_barrier
	buffer_gl0_inv
	ds_write2st64_b32 v30, v5, v13 offset0:4 offset1:5
	ds_write_b32 v30, v21 offset:1536
	s_waitcnt lgkmcnt(0)
	s_barrier
	buffer_gl0_inv
	s_and_saveexec_b32 s3, s1
	s_cbranch_execz .LBB0_71
; %bb.70:
	v_add_nc_u32_e32 v10, 0x400, v30
	ds_read2_b32 v[2:3], v10 offset1:32
	ds_read2_b32 v[4:5], v10 offset0:64 offset1:96
	ds_read2_b32 v[10:11], v10 offset0:128 offset1:160
	s_waitcnt lgkmcnt(2)
	v_add_f32_e32 v2, v3, v2
	s_waitcnt lgkmcnt(1)
	v_add_f32_e32 v3, v5, v4
	;; [unrolled: 2-line block ×3, first 2 shown]
	ds_write2st64_b32 v30, v2, v3 offset0:4 offset1:5
	ds_write_b32 v30, v4 offset:1536
.LBB0_71:
	s_or_b32 exec_lo, exec_lo, s3
	s_waitcnt lgkmcnt(0)
	s_barrier
	buffer_gl0_inv
	s_and_saveexec_b32 s3, s2
	s_cbranch_execz .LBB0_73
; %bb.72:
	v_add_nc_u32_e32 v10, 0x400, v30
	ds_read2_b32 v[2:3], v10 offset1:16
	ds_read2_b32 v[4:5], v10 offset0:64 offset1:80
	ds_read2_b32 v[10:11], v10 offset0:128 offset1:144
	s_waitcnt lgkmcnt(2)
	v_add_f32_e32 v2, v3, v2
	s_waitcnt lgkmcnt(1)
	v_add_f32_e32 v3, v5, v4
	;; [unrolled: 2-line block ×3, first 2 shown]
	ds_write2st64_b32 v30, v2, v3 offset0:4 offset1:5
	ds_write_b32 v30, v4 offset:1536
.LBB0_73:
	s_or_b32 exec_lo, exec_lo, s3
	s_waitcnt lgkmcnt(0)
	s_barrier
	buffer_gl0_inv
	s_and_saveexec_b32 s4, vcc_lo
	s_cbranch_execz .LBB0_77
; %bb.74:
	v_add_nc_u32_e32 v2, 24, v32
	v_add_nc_u32_e32 v4, 0x400, v31
	s_mov_b32 s5, 0
	v_mad_i64_i32 v[2:3], null, v2, 12, v[0:1]
	ds_read2_b32 v[10:11], v4 offset1:8
	global_load_dword v5, v[2:3], off
	s_waitcnt lgkmcnt(0)
	v_add_f32_e32 v10, v10, v11
.LBB0_75:                               ; =>This Inner Loop Header: Depth=1
	s_waitcnt vmcnt(0)
	v_add_f32_e32 v4, v5, v10
	global_atomic_cmpswap v4, v[2:3], v[4:5], off glc
	s_waitcnt vmcnt(0)
	v_cmp_eq_u32_e64 s3, v4, v5
	v_mov_b32_e32 v5, v4
	s_or_b32 s5, s3, s5
	s_andn2_b32 exec_lo, exec_lo, s5
	s_cbranch_execnz .LBB0_75
; %bb.76:
	s_or_b32 exec_lo, exec_lo, s5
	v_add_f32_e32 v2, v26, v10
	v_cndmask_b32_e64 v26, v26, v2, s0
.LBB0_77:
	s_or_b32 exec_lo, exec_lo, s4
	s_barrier
	buffer_gl0_inv
	ds_write2st64_b32 v30, v6, v14 offset0:4 offset1:5
	ds_write_b32 v30, v22 offset:1536
	s_waitcnt lgkmcnt(0)
	s_barrier
	buffer_gl0_inv
	s_and_saveexec_b32 s3, s1
	s_cbranch_execz .LBB0_79
; %bb.78:
	v_add_nc_u32_e32 v6, 0x400, v30
	ds_read2_b32 v[2:3], v6 offset1:32
	ds_read2_b32 v[4:5], v6 offset0:64 offset1:96
	ds_read2_b32 v[10:11], v6 offset0:128 offset1:160
	s_waitcnt lgkmcnt(2)
	v_add_f32_e32 v2, v3, v2
	s_waitcnt lgkmcnt(1)
	v_add_f32_e32 v3, v5, v4
	;; [unrolled: 2-line block ×3, first 2 shown]
	ds_write2st64_b32 v30, v2, v3 offset0:4 offset1:5
	ds_write_b32 v30, v4 offset:1536
.LBB0_79:
	s_or_b32 exec_lo, exec_lo, s3
	s_waitcnt lgkmcnt(0)
	s_barrier
	buffer_gl0_inv
	s_and_saveexec_b32 s3, s2
	s_cbranch_execz .LBB0_81
; %bb.80:
	v_add_nc_u32_e32 v6, 0x400, v30
	ds_read2_b32 v[2:3], v6 offset1:16
	ds_read2_b32 v[4:5], v6 offset0:64 offset1:80
	ds_read2_b32 v[10:11], v6 offset0:128 offset1:144
	s_waitcnt lgkmcnt(2)
	v_add_f32_e32 v2, v3, v2
	s_waitcnt lgkmcnt(1)
	v_add_f32_e32 v3, v5, v4
	;; [unrolled: 2-line block ×3, first 2 shown]
	ds_write2st64_b32 v30, v2, v3 offset0:4 offset1:5
	ds_write_b32 v30, v4 offset:1536
.LBB0_81:
	s_or_b32 exec_lo, exec_lo, s3
	s_waitcnt lgkmcnt(0)
	s_barrier
	buffer_gl0_inv
	s_and_saveexec_b32 s4, vcc_lo
	s_cbranch_execz .LBB0_85
; %bb.82:
	v_add_nc_u32_e32 v2, 32, v32
	v_add_nc_u32_e32 v4, 0x400, v31
	s_mov_b32 s5, 0
	v_mad_i64_i32 v[2:3], null, v2, 12, v[0:1]
	ds_read2_b32 v[10:11], v4 offset1:8
	global_load_dword v5, v[2:3], off
	s_waitcnt lgkmcnt(0)
	v_add_f32_e32 v6, v10, v11
.LBB0_83:                               ; =>This Inner Loop Header: Depth=1
	s_waitcnt vmcnt(0)
	v_add_f32_e32 v4, v5, v6
	global_atomic_cmpswap v4, v[2:3], v[4:5], off glc
	s_waitcnt vmcnt(0)
	v_cmp_eq_u32_e64 s3, v4, v5
	v_mov_b32_e32 v5, v4
	s_or_b32 s5, s3, s5
	s_andn2_b32 exec_lo, exec_lo, s5
	s_cbranch_execnz .LBB0_83
; %bb.84:
	s_or_b32 exec_lo, exec_lo, s5
	v_add_f32_e32 v2, v26, v6
	v_cndmask_b32_e64 v26, v26, v2, s0
.LBB0_85:
	s_or_b32 exec_lo, exec_lo, s4
	s_barrier
	buffer_gl0_inv
	ds_write2st64_b32 v30, v7, v15 offset0:4 offset1:5
	ds_write_b32 v30, v23 offset:1536
	s_waitcnt lgkmcnt(0)
	s_barrier
	buffer_gl0_inv
	s_and_saveexec_b32 s3, s1
	s_cbranch_execz .LBB0_87
; %bb.86:
	v_add_nc_u32_e32 v6, 0x400, v30
	ds_read2_b32 v[2:3], v6 offset1:32
	ds_read2_b32 v[4:5], v6 offset0:64 offset1:96
	ds_read2_b32 v[6:7], v6 offset0:128 offset1:160
	s_waitcnt lgkmcnt(2)
	v_add_f32_e32 v2, v3, v2
	s_waitcnt lgkmcnt(1)
	v_add_f32_e32 v3, v5, v4
	;; [unrolled: 2-line block ×3, first 2 shown]
	ds_write2st64_b32 v30, v2, v3 offset0:4 offset1:5
	ds_write_b32 v30, v4 offset:1536
.LBB0_87:
	s_or_b32 exec_lo, exec_lo, s3
	s_waitcnt lgkmcnt(0)
	s_barrier
	buffer_gl0_inv
	s_and_saveexec_b32 s3, s2
	s_cbranch_execz .LBB0_89
; %bb.88:
	v_add_nc_u32_e32 v6, 0x400, v30
	ds_read2_b32 v[2:3], v6 offset1:16
	ds_read2_b32 v[4:5], v6 offset0:64 offset1:80
	ds_read2_b32 v[6:7], v6 offset0:128 offset1:144
	s_waitcnt lgkmcnt(2)
	v_add_f32_e32 v2, v3, v2
	s_waitcnt lgkmcnt(1)
	v_add_f32_e32 v3, v5, v4
	;; [unrolled: 2-line block ×3, first 2 shown]
	ds_write2st64_b32 v30, v2, v3 offset0:4 offset1:5
	ds_write_b32 v30, v4 offset:1536
.LBB0_89:
	s_or_b32 exec_lo, exec_lo, s3
	s_waitcnt lgkmcnt(0)
	s_barrier
	buffer_gl0_inv
	s_and_saveexec_b32 s4, vcc_lo
	s_cbranch_execz .LBB0_93
; %bb.90:
	v_add_nc_u32_e32 v2, 40, v32
	v_add_nc_u32_e32 v4, 0x400, v31
	s_mov_b32 s5, 0
	v_mad_i64_i32 v[2:3], null, v2, 12, v[0:1]
	ds_read2_b32 v[6:7], v4 offset1:8
	global_load_dword v5, v[2:3], off
	s_waitcnt lgkmcnt(0)
	v_add_f32_e32 v6, v6, v7
.LBB0_91:                               ; =>This Inner Loop Header: Depth=1
	s_waitcnt vmcnt(0)
	v_add_f32_e32 v4, v5, v6
	global_atomic_cmpswap v4, v[2:3], v[4:5], off glc
	s_waitcnt vmcnt(0)
	v_cmp_eq_u32_e64 s3, v4, v5
	v_mov_b32_e32 v5, v4
	s_or_b32 s5, s3, s5
	s_andn2_b32 exec_lo, exec_lo, s5
	s_cbranch_execnz .LBB0_91
; %bb.92:
	s_or_b32 exec_lo, exec_lo, s5
	v_add_f32_e32 v2, v26, v6
	v_cndmask_b32_e64 v26, v26, v2, s0
.LBB0_93:
	s_or_b32 exec_lo, exec_lo, s4
	s_barrier
	buffer_gl0_inv
	ds_write2st64_b32 v30, v8, v16 offset0:4 offset1:5
	ds_write_b32 v30, v24 offset:1536
	s_waitcnt lgkmcnt(0)
	s_barrier
	buffer_gl0_inv
	s_and_saveexec_b32 s3, s1
	s_cbranch_execz .LBB0_95
; %bb.94:
	v_add_nc_u32_e32 v6, 0x400, v30
	ds_read2_b32 v[2:3], v6 offset1:32
	ds_read2_b32 v[4:5], v6 offset0:64 offset1:96
	ds_read2_b32 v[6:7], v6 offset0:128 offset1:160
	s_waitcnt lgkmcnt(2)
	v_add_f32_e32 v2, v3, v2
	s_waitcnt lgkmcnt(1)
	v_add_f32_e32 v3, v5, v4
	;; [unrolled: 2-line block ×3, first 2 shown]
	ds_write2st64_b32 v30, v2, v3 offset0:4 offset1:5
	ds_write_b32 v30, v4 offset:1536
.LBB0_95:
	s_or_b32 exec_lo, exec_lo, s3
	s_waitcnt lgkmcnt(0)
	s_barrier
	buffer_gl0_inv
	s_and_saveexec_b32 s3, s2
	s_cbranch_execz .LBB0_97
; %bb.96:
	v_add_nc_u32_e32 v6, 0x400, v30
	ds_read2_b32 v[2:3], v6 offset1:16
	ds_read2_b32 v[4:5], v6 offset0:64 offset1:80
	ds_read2_b32 v[6:7], v6 offset0:128 offset1:144
	s_waitcnt lgkmcnt(2)
	v_add_f32_e32 v2, v3, v2
	s_waitcnt lgkmcnt(1)
	v_add_f32_e32 v3, v5, v4
	;; [unrolled: 2-line block ×3, first 2 shown]
	ds_write2st64_b32 v30, v2, v3 offset0:4 offset1:5
	ds_write_b32 v30, v4 offset:1536
.LBB0_97:
	s_or_b32 exec_lo, exec_lo, s3
	s_waitcnt lgkmcnt(0)
	s_barrier
	buffer_gl0_inv
	s_and_saveexec_b32 s4, vcc_lo
	s_cbranch_execz .LBB0_101
; %bb.98:
	v_add_nc_u32_e32 v2, 48, v32
	v_add_nc_u32_e32 v4, 0x400, v31
	s_mov_b32 s5, 0
	v_mad_i64_i32 v[2:3], null, v2, 12, v[0:1]
	ds_read2_b32 v[6:7], v4 offset1:8
	global_load_dword v5, v[2:3], off
	s_waitcnt lgkmcnt(0)
	v_add_f32_e32 v6, v6, v7
.LBB0_99:                               ; =>This Inner Loop Header: Depth=1
	s_waitcnt vmcnt(0)
	v_add_f32_e32 v4, v5, v6
	global_atomic_cmpswap v4, v[2:3], v[4:5], off glc
	s_waitcnt vmcnt(0)
	v_cmp_eq_u32_e64 s3, v4, v5
	v_mov_b32_e32 v5, v4
	s_or_b32 s5, s3, s5
	s_andn2_b32 exec_lo, exec_lo, s5
	s_cbranch_execnz .LBB0_99
; %bb.100:
	s_or_b32 exec_lo, exec_lo, s5
	v_add_f32_e32 v2, v26, v6
	v_cndmask_b32_e64 v26, v26, v2, s0
.LBB0_101:
	s_or_b32 exec_lo, exec_lo, s4
	s_barrier
	buffer_gl0_inv
	ds_write2st64_b32 v30, v9, v17 offset0:4 offset1:5
	ds_write_b32 v30, v25 offset:1536
	s_waitcnt lgkmcnt(0)
	s_barrier
	buffer_gl0_inv
	s_and_saveexec_b32 s3, s1
	s_cbranch_execz .LBB0_103
; %bb.102:
	v_add_nc_u32_e32 v6, 0x400, v30
	ds_read2_b32 v[2:3], v6 offset1:32
	ds_read2_b32 v[4:5], v6 offset0:64 offset1:96
	ds_read2_b32 v[6:7], v6 offset0:128 offset1:160
	s_waitcnt lgkmcnt(2)
	v_add_f32_e32 v2, v3, v2
	s_waitcnt lgkmcnt(1)
	v_add_f32_e32 v3, v5, v4
	;; [unrolled: 2-line block ×3, first 2 shown]
	ds_write2st64_b32 v30, v2, v3 offset0:4 offset1:5
	ds_write_b32 v30, v4 offset:1536
.LBB0_103:
	s_or_b32 exec_lo, exec_lo, s3
	s_waitcnt lgkmcnt(0)
	s_barrier
	buffer_gl0_inv
	s_and_saveexec_b32 s1, s2
	s_cbranch_execz .LBB0_105
; %bb.104:
	v_add_nc_u32_e32 v6, 0x400, v30
	ds_read2_b32 v[2:3], v6 offset1:16
	ds_read2_b32 v[4:5], v6 offset0:64 offset1:80
	ds_read2_b32 v[6:7], v6 offset0:128 offset1:144
	s_waitcnt lgkmcnt(2)
	v_add_f32_e32 v2, v3, v2
	s_waitcnt lgkmcnt(1)
	v_add_f32_e32 v3, v5, v4
	;; [unrolled: 2-line block ×3, first 2 shown]
	ds_write2st64_b32 v30, v2, v3 offset0:4 offset1:5
	ds_write_b32 v30, v4 offset:1536
.LBB0_105:
	s_or_b32 exec_lo, exec_lo, s1
	s_waitcnt lgkmcnt(0)
	s_barrier
	buffer_gl0_inv
	s_and_saveexec_b32 s2, vcc_lo
	s_cbranch_execz .LBB0_109
; %bb.106:
	v_add_nc_u32_e32 v2, 56, v32
	s_mov_b32 s3, 0
	v_mad_i64_i32 v[0:1], null, v2, 12, v[0:1]
	v_add_nc_u32_e32 v2, 0x400, v31
	ds_read2_b32 v[4:5], v2 offset1:8
	global_load_dword v3, v[0:1], off
	s_waitcnt lgkmcnt(0)
	v_add_f32_e32 v4, v4, v5
.LBB0_107:                              ; =>This Inner Loop Header: Depth=1
	s_waitcnt vmcnt(0)
	v_add_f32_e32 v2, v3, v4
	global_atomic_cmpswap v2, v[0:1], v[2:3], off glc
	s_waitcnt vmcnt(0)
	v_cmp_eq_u32_e64 s1, v2, v3
	v_mov_b32_e32 v3, v2
	s_or_b32 s3, s1, s3
	s_andn2_b32 exec_lo, exec_lo, s3
	s_cbranch_execnz .LBB0_107
; %bb.108:
	s_or_b32 exec_lo, exec_lo, s3
	v_add_f32_e32 v0, v26, v4
	v_cndmask_b32_e64 v26, v26, v0, s0
.LBB0_109:
	s_or_b32 exec_lo, exec_lo, s2
	s_and_b32 s0, s0, vcc_lo
	s_barrier
	buffer_gl0_inv
	s_and_saveexec_b32 s1, s0
	s_cbranch_execz .LBB0_112
; %bb.110:
	s_add_u32 s0, s14, s29
	s_addc_u32 s1, s15, s28
	global_load_dword v3, v18, s[0:1]
	v_add_co_u32 v0, s0, s0, v18
	v_add_co_ci_u32_e64 v1, null, s1, 0, s0
	s_mov_b32 s0, 0
.LBB0_111:                              ; =>This Inner Loop Header: Depth=1
	s_waitcnt vmcnt(0)
	v_add_f32_e32 v2, v3, v26
	global_atomic_cmpswap v2, v[0:1], v[2:3], off glc
	s_waitcnt vmcnt(0)
	v_cmp_eq_u32_e32 vcc_lo, v2, v3
	v_mov_b32_e32 v3, v2
	s_or_b32 s0, vcc_lo, s0
	s_andn2_b32 exec_lo, exec_lo, s0
	s_cbranch_execnz .LBB0_111
.LBB0_112:
	s_endpgm
	.section	.rodata,"a",@progbits
	.p2align	6, 0x0
	.amdhsa_kernel _Z15nbnxmKernelTestPK15HIP_vector_typeIfLj4EEPN3gmx11BasicVectorIfEES6_S6_P11nbnxn_cj4_tPK9nbnxn_sciPK12nbnxn_excl_tPKiPKS_IfLj2EEifffb
		.amdhsa_group_segment_fixed_size 2048
		.amdhsa_private_segment_fixed_size 0
		.amdhsa_kernarg_size 92
		.amdhsa_user_sgpr_count 6
		.amdhsa_user_sgpr_private_segment_buffer 1
		.amdhsa_user_sgpr_dispatch_ptr 0
		.amdhsa_user_sgpr_queue_ptr 0
		.amdhsa_user_sgpr_kernarg_segment_ptr 1
		.amdhsa_user_sgpr_dispatch_id 0
		.amdhsa_user_sgpr_flat_scratch_init 0
		.amdhsa_user_sgpr_private_segment_size 0
		.amdhsa_wavefront_size32 1
		.amdhsa_uses_dynamic_stack 0
		.amdhsa_system_sgpr_private_segment_wavefront_offset 0
		.amdhsa_system_sgpr_workgroup_id_x 1
		.amdhsa_system_sgpr_workgroup_id_y 0
		.amdhsa_system_sgpr_workgroup_id_z 1
		.amdhsa_system_sgpr_workgroup_info 0
		.amdhsa_system_vgpr_workitem_id 1
		.amdhsa_next_free_vgpr 81
		.amdhsa_next_free_sgpr 50
		.amdhsa_reserve_vcc 1
		.amdhsa_reserve_flat_scratch 0
		.amdhsa_float_round_mode_32 0
		.amdhsa_float_round_mode_16_64 0
		.amdhsa_float_denorm_mode_32 3
		.amdhsa_float_denorm_mode_16_64 3
		.amdhsa_dx10_clamp 1
		.amdhsa_ieee_mode 1
		.amdhsa_fp16_overflow 0
		.amdhsa_workgroup_processor_mode 1
		.amdhsa_memory_ordered 1
		.amdhsa_forward_progress 1
		.amdhsa_shared_vgpr_count 0
		.amdhsa_exception_fp_ieee_invalid_op 0
		.amdhsa_exception_fp_denorm_src 0
		.amdhsa_exception_fp_ieee_div_zero 0
		.amdhsa_exception_fp_ieee_overflow 0
		.amdhsa_exception_fp_ieee_underflow 0
		.amdhsa_exception_fp_ieee_inexact 0
		.amdhsa_exception_int_div_zero 0
	.end_amdhsa_kernel
	.text
.Lfunc_end0:
	.size	_Z15nbnxmKernelTestPK15HIP_vector_typeIfLj4EEPN3gmx11BasicVectorIfEES6_S6_P11nbnxn_cj4_tPK9nbnxn_sciPK12nbnxn_excl_tPKiPKS_IfLj2EEifffb, .Lfunc_end0-_Z15nbnxmKernelTestPK15HIP_vector_typeIfLj4EEPN3gmx11BasicVectorIfEES6_S6_P11nbnxn_cj4_tPK9nbnxn_sciPK12nbnxn_excl_tPKiPKS_IfLj2EEifffb
                                        ; -- End function
	.set _Z15nbnxmKernelTestPK15HIP_vector_typeIfLj4EEPN3gmx11BasicVectorIfEES6_S6_P11nbnxn_cj4_tPK9nbnxn_sciPK12nbnxn_excl_tPKiPKS_IfLj2EEifffb.num_vgpr, 81
	.set _Z15nbnxmKernelTestPK15HIP_vector_typeIfLj4EEPN3gmx11BasicVectorIfEES6_S6_P11nbnxn_cj4_tPK9nbnxn_sciPK12nbnxn_excl_tPKiPKS_IfLj2EEifffb.num_agpr, 0
	.set _Z15nbnxmKernelTestPK15HIP_vector_typeIfLj4EEPN3gmx11BasicVectorIfEES6_S6_P11nbnxn_cj4_tPK9nbnxn_sciPK12nbnxn_excl_tPKiPKS_IfLj2EEifffb.numbered_sgpr, 50
	.set _Z15nbnxmKernelTestPK15HIP_vector_typeIfLj4EEPN3gmx11BasicVectorIfEES6_S6_P11nbnxn_cj4_tPK9nbnxn_sciPK12nbnxn_excl_tPKiPKS_IfLj2EEifffb.num_named_barrier, 0
	.set _Z15nbnxmKernelTestPK15HIP_vector_typeIfLj4EEPN3gmx11BasicVectorIfEES6_S6_P11nbnxn_cj4_tPK9nbnxn_sciPK12nbnxn_excl_tPKiPKS_IfLj2EEifffb.private_seg_size, 0
	.set _Z15nbnxmKernelTestPK15HIP_vector_typeIfLj4EEPN3gmx11BasicVectorIfEES6_S6_P11nbnxn_cj4_tPK9nbnxn_sciPK12nbnxn_excl_tPKiPKS_IfLj2EEifffb.uses_vcc, 1
	.set _Z15nbnxmKernelTestPK15HIP_vector_typeIfLj4EEPN3gmx11BasicVectorIfEES6_S6_P11nbnxn_cj4_tPK9nbnxn_sciPK12nbnxn_excl_tPKiPKS_IfLj2EEifffb.uses_flat_scratch, 0
	.set _Z15nbnxmKernelTestPK15HIP_vector_typeIfLj4EEPN3gmx11BasicVectorIfEES6_S6_P11nbnxn_cj4_tPK9nbnxn_sciPK12nbnxn_excl_tPKiPKS_IfLj2EEifffb.has_dyn_sized_stack, 0
	.set _Z15nbnxmKernelTestPK15HIP_vector_typeIfLj4EEPN3gmx11BasicVectorIfEES6_S6_P11nbnxn_cj4_tPK9nbnxn_sciPK12nbnxn_excl_tPKiPKS_IfLj2EEifffb.has_recursion, 0
	.set _Z15nbnxmKernelTestPK15HIP_vector_typeIfLj4EEPN3gmx11BasicVectorIfEES6_S6_P11nbnxn_cj4_tPK9nbnxn_sciPK12nbnxn_excl_tPKiPKS_IfLj2EEifffb.has_indirect_call, 0
	.section	.AMDGPU.csdata,"",@progbits
; Kernel info:
; codeLenInByte = 8136
; TotalNumSgprs: 52
; NumVgprs: 81
; ScratchSize: 0
; MemoryBound: 0
; FloatMode: 240
; IeeeMode: 1
; LDSByteSize: 2048 bytes/workgroup (compile time only)
; SGPRBlocks: 0
; VGPRBlocks: 10
; NumSGPRsForWavesPerEU: 52
; NumVGPRsForWavesPerEU: 81
; Occupancy: 10
; WaveLimiterHint : 1
; COMPUTE_PGM_RSRC2:SCRATCH_EN: 0
; COMPUTE_PGM_RSRC2:USER_SGPR: 6
; COMPUTE_PGM_RSRC2:TRAP_HANDLER: 0
; COMPUTE_PGM_RSRC2:TGID_X_EN: 1
; COMPUTE_PGM_RSRC2:TGID_Y_EN: 0
; COMPUTE_PGM_RSRC2:TGID_Z_EN: 1
; COMPUTE_PGM_RSRC2:TIDIG_COMP_CNT: 1
	.text
	.p2alignl 6, 3214868480
	.fill 48, 4, 3214868480
	.section	.AMDGPU.gpr_maximums,"",@progbits
	.set amdgpu.max_num_vgpr, 0
	.set amdgpu.max_num_agpr, 0
	.set amdgpu.max_num_sgpr, 0
	.text
	.type	__hip_cuid_3745e29ed9a1bbc5,@object ; @__hip_cuid_3745e29ed9a1bbc5
	.section	.bss,"aw",@nobits
	.globl	__hip_cuid_3745e29ed9a1bbc5
__hip_cuid_3745e29ed9a1bbc5:
	.byte	0                               ; 0x0
	.size	__hip_cuid_3745e29ed9a1bbc5, 1

	.ident	"AMD clang version 22.0.0git (https://github.com/RadeonOpenCompute/llvm-project roc-7.2.4 26084 f58b06dce1f9c15707c5f808fd002e18c2accf7e)"
	.section	".note.GNU-stack","",@progbits
	.addrsig
	.addrsig_sym __hip_cuid_3745e29ed9a1bbc5
	.amdgpu_metadata
---
amdhsa.kernels:
  - .args:
      - .actual_access:  read_only
        .address_space:  global
        .offset:         0
        .size:           8
        .value_kind:     global_buffer
      - .address_space:  global
        .offset:         8
        .size:           8
        .value_kind:     global_buffer
      - .actual_access:  read_only
        .address_space:  global
        .offset:         16
        .size:           8
        .value_kind:     global_buffer
      - .address_space:  global
        .offset:         24
        .size:           8
        .value_kind:     global_buffer
      - .actual_access:  read_only
        .address_space:  global
        .offset:         32
        .size:           8
        .value_kind:     global_buffer
      - .actual_access:  read_only
        .address_space:  global
        .offset:         40
        .size:           8
        .value_kind:     global_buffer
      - .actual_access:  read_only
        .address_space:  global
        .offset:         48
        .size:           8
        .value_kind:     global_buffer
      - .actual_access:  read_only
        .address_space:  global
        .offset:         56
        .size:           8
        .value_kind:     global_buffer
      - .actual_access:  read_only
        .address_space:  global
        .offset:         64
        .size:           8
        .value_kind:     global_buffer
      - .offset:         72
        .size:           4
        .value_kind:     by_value
      - .offset:         76
        .size:           4
        .value_kind:     by_value
      - .offset:         80
        .size:           4
        .value_kind:     by_value
      - .offset:         84
        .size:           4
        .value_kind:     by_value
      - .offset:         88
        .size:           1
        .value_kind:     by_value
    .group_segment_fixed_size: 2048
    .kernarg_segment_align: 8
    .kernarg_segment_size: 92
    .language:       OpenCL C
    .language_version:
      - 2
      - 0
    .max_flat_workgroup_size: 1024
    .name:           _Z15nbnxmKernelTestPK15HIP_vector_typeIfLj4EEPN3gmx11BasicVectorIfEES6_S6_P11nbnxn_cj4_tPK9nbnxn_sciPK12nbnxn_excl_tPKiPKS_IfLj2EEifffb
    .private_segment_fixed_size: 0
    .sgpr_count:     52
    .sgpr_spill_count: 0
    .symbol:         _Z15nbnxmKernelTestPK15HIP_vector_typeIfLj4EEPN3gmx11BasicVectorIfEES6_S6_P11nbnxn_cj4_tPK9nbnxn_sciPK12nbnxn_excl_tPKiPKS_IfLj2EEifffb.kd
    .uniform_work_group_size: 1
    .uses_dynamic_stack: false
    .vgpr_count:     81
    .vgpr_spill_count: 0
    .wavefront_size: 32
    .workgroup_processor_mode: 1
amdhsa.target:   amdgcn-amd-amdhsa--gfx1030
amdhsa.version:
  - 1
  - 2
...

	.end_amdgpu_metadata
